;; amdgpu-corpus repo=ROCm/rocFFT kind=compiled arch=gfx1201 opt=O3
	.text
	.amdgcn_target "amdgcn-amd-amdhsa--gfx1201"
	.amdhsa_code_object_version 6
	.protected	fft_rtc_fwd_len486_factors_6_3_3_3_3_wgs_162_tpt_162_halfLds_sp_ip_CI_sbrr_dirReg ; -- Begin function fft_rtc_fwd_len486_factors_6_3_3_3_3_wgs_162_tpt_162_halfLds_sp_ip_CI_sbrr_dirReg
	.globl	fft_rtc_fwd_len486_factors_6_3_3_3_3_wgs_162_tpt_162_halfLds_sp_ip_CI_sbrr_dirReg
	.p2align	8
	.type	fft_rtc_fwd_len486_factors_6_3_3_3_3_wgs_162_tpt_162_halfLds_sp_ip_CI_sbrr_dirReg,@function
fft_rtc_fwd_len486_factors_6_3_3_3_3_wgs_162_tpt_162_halfLds_sp_ip_CI_sbrr_dirReg: ; @fft_rtc_fwd_len486_factors_6_3_3_3_3_wgs_162_tpt_162_halfLds_sp_ip_CI_sbrr_dirReg
; %bb.0:
	s_clause 0x2
	s_load_b64 s[12:13], s[0:1], 0x18
	s_load_b128 s[4:7], s[0:1], 0x0
	s_load_b64 s[8:9], s[0:1], 0x50
	v_mul_u32_u24_e32 v1, 0x195, v0
	v_mov_b32_e32 v3, 0
	s_delay_alu instid0(VALU_DEP_2) | instskip(NEXT) | instid1(VALU_DEP_1)
	v_lshrrev_b32_e32 v1, 16, v1
	v_add_nc_u32_e32 v5, ttmp9, v1
	v_mov_b32_e32 v1, 0
	v_mov_b32_e32 v2, 0
	;; [unrolled: 1-line block ×3, first 2 shown]
	s_wait_kmcnt 0x0
	s_load_b64 s[10:11], s[12:13], 0x0
	v_cmp_lt_u64_e64 s2, s[6:7], 2
	s_delay_alu instid0(VALU_DEP_1)
	s_and_b32 vcc_lo, exec_lo, s2
	s_cbranch_vccnz .LBB0_8
; %bb.1:
	s_load_b64 s[2:3], s[0:1], 0x10
	v_mov_b32_e32 v1, 0
	v_mov_b32_e32 v2, 0
	s_add_nc_u64 s[14:15], s[12:13], 8
	s_mov_b64 s[16:17], 1
	s_wait_kmcnt 0x0
	s_add_nc_u64 s[18:19], s[2:3], 8
	s_mov_b32 s3, 0
.LBB0_2:                                ; =>This Inner Loop Header: Depth=1
	s_load_b64 s[20:21], s[18:19], 0x0
                                        ; implicit-def: $vgpr7_vgpr8
	s_mov_b32 s2, exec_lo
	s_wait_kmcnt 0x0
	v_or_b32_e32 v4, s21, v6
	s_delay_alu instid0(VALU_DEP_1)
	v_cmpx_ne_u64_e32 0, v[3:4]
	s_wait_alu 0xfffe
	s_xor_b32 s22, exec_lo, s2
	s_cbranch_execz .LBB0_4
; %bb.3:                                ;   in Loop: Header=BB0_2 Depth=1
	s_cvt_f32_u32 s2, s20
	s_cvt_f32_u32 s23, s21
	s_sub_nc_u64 s[26:27], 0, s[20:21]
	s_wait_alu 0xfffe
	s_delay_alu instid0(SALU_CYCLE_1) | instskip(SKIP_1) | instid1(SALU_CYCLE_2)
	s_fmamk_f32 s2, s23, 0x4f800000, s2
	s_wait_alu 0xfffe
	v_s_rcp_f32 s2, s2
	s_delay_alu instid0(TRANS32_DEP_1) | instskip(SKIP_1) | instid1(SALU_CYCLE_2)
	s_mul_f32 s2, s2, 0x5f7ffffc
	s_wait_alu 0xfffe
	s_mul_f32 s23, s2, 0x2f800000
	s_wait_alu 0xfffe
	s_delay_alu instid0(SALU_CYCLE_2) | instskip(SKIP_1) | instid1(SALU_CYCLE_2)
	s_trunc_f32 s23, s23
	s_wait_alu 0xfffe
	s_fmamk_f32 s2, s23, 0xcf800000, s2
	s_cvt_u32_f32 s25, s23
	s_wait_alu 0xfffe
	s_delay_alu instid0(SALU_CYCLE_1) | instskip(SKIP_1) | instid1(SALU_CYCLE_2)
	s_cvt_u32_f32 s24, s2
	s_wait_alu 0xfffe
	s_mul_u64 s[28:29], s[26:27], s[24:25]
	s_wait_alu 0xfffe
	s_mul_hi_u32 s31, s24, s29
	s_mul_i32 s30, s24, s29
	s_mul_hi_u32 s2, s24, s28
	s_mul_i32 s33, s25, s28
	s_wait_alu 0xfffe
	s_add_nc_u64 s[30:31], s[2:3], s[30:31]
	s_mul_hi_u32 s23, s25, s28
	s_mul_hi_u32 s34, s25, s29
	s_add_co_u32 s2, s30, s33
	s_wait_alu 0xfffe
	s_add_co_ci_u32 s2, s31, s23
	s_mul_i32 s28, s25, s29
	s_add_co_ci_u32 s29, s34, 0
	s_wait_alu 0xfffe
	s_add_nc_u64 s[28:29], s[2:3], s[28:29]
	s_wait_alu 0xfffe
	v_add_co_u32 v4, s2, s24, s28
	s_delay_alu instid0(VALU_DEP_1) | instskip(SKIP_1) | instid1(VALU_DEP_1)
	s_cmp_lg_u32 s2, 0
	s_add_co_ci_u32 s25, s25, s29
	v_readfirstlane_b32 s24, v4
	s_wait_alu 0xfffe
	s_delay_alu instid0(VALU_DEP_1)
	s_mul_u64 s[26:27], s[26:27], s[24:25]
	s_wait_alu 0xfffe
	s_mul_hi_u32 s29, s24, s27
	s_mul_i32 s28, s24, s27
	s_mul_hi_u32 s2, s24, s26
	s_mul_i32 s30, s25, s26
	s_wait_alu 0xfffe
	s_add_nc_u64 s[28:29], s[2:3], s[28:29]
	s_mul_hi_u32 s23, s25, s26
	s_mul_hi_u32 s24, s25, s27
	s_wait_alu 0xfffe
	s_add_co_u32 s2, s28, s30
	s_add_co_ci_u32 s2, s29, s23
	s_mul_i32 s26, s25, s27
	s_add_co_ci_u32 s27, s24, 0
	s_wait_alu 0xfffe
	s_add_nc_u64 s[26:27], s[2:3], s[26:27]
	s_wait_alu 0xfffe
	v_add_co_u32 v4, s2, v4, s26
	s_delay_alu instid0(VALU_DEP_1) | instskip(SKIP_1) | instid1(VALU_DEP_1)
	s_cmp_lg_u32 s2, 0
	s_add_co_ci_u32 s2, s25, s27
	v_mul_hi_u32 v13, v5, v4
	s_wait_alu 0xfffe
	v_mad_co_u64_u32 v[7:8], null, v5, s2, 0
	v_mad_co_u64_u32 v[9:10], null, v6, v4, 0
	;; [unrolled: 1-line block ×3, first 2 shown]
	s_delay_alu instid0(VALU_DEP_3) | instskip(SKIP_1) | instid1(VALU_DEP_4)
	v_add_co_u32 v4, vcc_lo, v13, v7
	s_wait_alu 0xfffd
	v_add_co_ci_u32_e32 v7, vcc_lo, 0, v8, vcc_lo
	s_delay_alu instid0(VALU_DEP_2) | instskip(SKIP_1) | instid1(VALU_DEP_2)
	v_add_co_u32 v4, vcc_lo, v4, v9
	s_wait_alu 0xfffd
	v_add_co_ci_u32_e32 v4, vcc_lo, v7, v10, vcc_lo
	s_wait_alu 0xfffd
	v_add_co_ci_u32_e32 v7, vcc_lo, 0, v12, vcc_lo
	s_delay_alu instid0(VALU_DEP_2) | instskip(SKIP_1) | instid1(VALU_DEP_2)
	v_add_co_u32 v4, vcc_lo, v4, v11
	s_wait_alu 0xfffd
	v_add_co_ci_u32_e32 v9, vcc_lo, 0, v7, vcc_lo
	s_delay_alu instid0(VALU_DEP_2) | instskip(SKIP_1) | instid1(VALU_DEP_3)
	v_mul_lo_u32 v10, s21, v4
	v_mad_co_u64_u32 v[7:8], null, s20, v4, 0
	v_mul_lo_u32 v11, s20, v9
	s_delay_alu instid0(VALU_DEP_2) | instskip(NEXT) | instid1(VALU_DEP_2)
	v_sub_co_u32 v7, vcc_lo, v5, v7
	v_add3_u32 v8, v8, v11, v10
	s_delay_alu instid0(VALU_DEP_1) | instskip(SKIP_1) | instid1(VALU_DEP_1)
	v_sub_nc_u32_e32 v10, v6, v8
	s_wait_alu 0xfffd
	v_subrev_co_ci_u32_e64 v10, s2, s21, v10, vcc_lo
	v_add_co_u32 v11, s2, v4, 2
	s_wait_alu 0xf1ff
	v_add_co_ci_u32_e64 v12, s2, 0, v9, s2
	v_sub_co_u32 v13, s2, v7, s20
	v_sub_co_ci_u32_e32 v8, vcc_lo, v6, v8, vcc_lo
	s_wait_alu 0xf1ff
	v_subrev_co_ci_u32_e64 v10, s2, 0, v10, s2
	s_delay_alu instid0(VALU_DEP_3) | instskip(NEXT) | instid1(VALU_DEP_3)
	v_cmp_le_u32_e32 vcc_lo, s20, v13
	v_cmp_eq_u32_e64 s2, s21, v8
	s_wait_alu 0xfffd
	v_cndmask_b32_e64 v13, 0, -1, vcc_lo
	v_cmp_le_u32_e32 vcc_lo, s21, v10
	s_wait_alu 0xfffd
	v_cndmask_b32_e64 v14, 0, -1, vcc_lo
	v_cmp_le_u32_e32 vcc_lo, s20, v7
	;; [unrolled: 3-line block ×3, first 2 shown]
	s_wait_alu 0xfffd
	v_cndmask_b32_e64 v15, 0, -1, vcc_lo
	v_cmp_eq_u32_e32 vcc_lo, s21, v10
	s_wait_alu 0xf1ff
	s_delay_alu instid0(VALU_DEP_2)
	v_cndmask_b32_e64 v7, v15, v7, s2
	s_wait_alu 0xfffd
	v_cndmask_b32_e32 v10, v14, v13, vcc_lo
	v_add_co_u32 v13, vcc_lo, v4, 1
	s_wait_alu 0xfffd
	v_add_co_ci_u32_e32 v14, vcc_lo, 0, v9, vcc_lo
	s_delay_alu instid0(VALU_DEP_3) | instskip(SKIP_2) | instid1(VALU_DEP_3)
	v_cmp_ne_u32_e32 vcc_lo, 0, v10
	s_wait_alu 0xfffd
	v_cndmask_b32_e32 v10, v13, v11, vcc_lo
	v_cndmask_b32_e32 v8, v14, v12, vcc_lo
	v_cmp_ne_u32_e32 vcc_lo, 0, v7
	s_wait_alu 0xfffd
	s_delay_alu instid0(VALU_DEP_2)
	v_dual_cndmask_b32 v7, v4, v10 :: v_dual_cndmask_b32 v8, v9, v8
.LBB0_4:                                ;   in Loop: Header=BB0_2 Depth=1
	s_wait_alu 0xfffe
	s_and_not1_saveexec_b32 s2, s22
	s_cbranch_execz .LBB0_6
; %bb.5:                                ;   in Loop: Header=BB0_2 Depth=1
	v_cvt_f32_u32_e32 v4, s20
	s_sub_co_i32 s22, 0, s20
	s_delay_alu instid0(VALU_DEP_1) | instskip(NEXT) | instid1(TRANS32_DEP_1)
	v_rcp_iflag_f32_e32 v4, v4
	v_mul_f32_e32 v4, 0x4f7ffffe, v4
	s_delay_alu instid0(VALU_DEP_1) | instskip(SKIP_1) | instid1(VALU_DEP_1)
	v_cvt_u32_f32_e32 v4, v4
	s_wait_alu 0xfffe
	v_mul_lo_u32 v7, s22, v4
	s_delay_alu instid0(VALU_DEP_1) | instskip(NEXT) | instid1(VALU_DEP_1)
	v_mul_hi_u32 v7, v4, v7
	v_add_nc_u32_e32 v4, v4, v7
	s_delay_alu instid0(VALU_DEP_1) | instskip(NEXT) | instid1(VALU_DEP_1)
	v_mul_hi_u32 v4, v5, v4
	v_mul_lo_u32 v7, v4, s20
	v_add_nc_u32_e32 v8, 1, v4
	s_delay_alu instid0(VALU_DEP_2) | instskip(NEXT) | instid1(VALU_DEP_1)
	v_sub_nc_u32_e32 v7, v5, v7
	v_subrev_nc_u32_e32 v9, s20, v7
	v_cmp_le_u32_e32 vcc_lo, s20, v7
	s_wait_alu 0xfffd
	s_delay_alu instid0(VALU_DEP_2) | instskip(NEXT) | instid1(VALU_DEP_1)
	v_dual_cndmask_b32 v7, v7, v9 :: v_dual_cndmask_b32 v4, v4, v8
	v_cmp_le_u32_e32 vcc_lo, s20, v7
	s_delay_alu instid0(VALU_DEP_2) | instskip(SKIP_1) | instid1(VALU_DEP_1)
	v_add_nc_u32_e32 v8, 1, v4
	s_wait_alu 0xfffd
	v_dual_cndmask_b32 v7, v4, v8 :: v_dual_mov_b32 v8, v3
.LBB0_6:                                ;   in Loop: Header=BB0_2 Depth=1
	s_wait_alu 0xfffe
	s_or_b32 exec_lo, exec_lo, s2
	s_load_b64 s[22:23], s[14:15], 0x0
	s_delay_alu instid0(VALU_DEP_1)
	v_mul_lo_u32 v4, v8, s20
	v_mul_lo_u32 v11, v7, s21
	v_mad_co_u64_u32 v[9:10], null, v7, s20, 0
	s_add_nc_u64 s[16:17], s[16:17], 1
	s_add_nc_u64 s[14:15], s[14:15], 8
	s_wait_alu 0xfffe
	v_cmp_ge_u64_e64 s2, s[16:17], s[6:7]
	s_add_nc_u64 s[18:19], s[18:19], 8
	s_delay_alu instid0(VALU_DEP_2) | instskip(NEXT) | instid1(VALU_DEP_3)
	v_add3_u32 v4, v10, v11, v4
	v_sub_co_u32 v5, vcc_lo, v5, v9
	s_wait_alu 0xfffd
	s_delay_alu instid0(VALU_DEP_2) | instskip(SKIP_3) | instid1(VALU_DEP_2)
	v_sub_co_ci_u32_e32 v4, vcc_lo, v6, v4, vcc_lo
	s_and_b32 vcc_lo, exec_lo, s2
	s_wait_kmcnt 0x0
	v_mul_lo_u32 v6, s23, v5
	v_mul_lo_u32 v4, s22, v4
	v_mad_co_u64_u32 v[1:2], null, s22, v5, v[1:2]
	s_delay_alu instid0(VALU_DEP_1)
	v_add3_u32 v2, v6, v2, v4
	s_wait_alu 0xfffe
	s_cbranch_vccnz .LBB0_9
; %bb.7:                                ;   in Loop: Header=BB0_2 Depth=1
	v_dual_mov_b32 v5, v7 :: v_dual_mov_b32 v6, v8
	s_branch .LBB0_2
.LBB0_8:
	v_dual_mov_b32 v8, v6 :: v_dual_mov_b32 v7, v5
.LBB0_9:
	s_lshl_b64 s[2:3], s[6:7], 3
	v_mul_hi_u32 v3, 0x1948b10, v0
	s_wait_alu 0xfffe
	s_add_nc_u64 s[2:3], s[12:13], s[2:3]
	v_mov_b32_e32 v17, 0
	s_load_b64 s[2:3], s[2:3], 0x0
	s_load_b64 s[0:1], s[0:1], 0x20
                                        ; implicit-def: $vgpr6
                                        ; implicit-def: $vgpr12
                                        ; implicit-def: $vgpr14
                                        ; implicit-def: $vgpr10
	s_delay_alu instid0(VALU_DEP_2) | instskip(NEXT) | instid1(VALU_DEP_1)
	v_mul_u32_u24_e32 v3, 0xa2, v3
	v_sub_nc_u32_e32 v0, v0, v3
	s_wait_kmcnt 0x0
	v_mul_lo_u32 v4, s2, v8
	v_mul_lo_u32 v5, s3, v7
	v_mad_co_u64_u32 v[1:2], null, s2, v7, v[1:2]
	v_cmp_gt_u64_e32 vcc_lo, s[0:1], v[7:8]
                                        ; implicit-def: $vgpr8
	s_delay_alu instid0(VALU_DEP_2)
	v_add3_u32 v2, v5, v2, v4
                                        ; implicit-def: $vgpr4
	s_and_saveexec_b32 s1, vcc_lo
	s_cbranch_execz .LBB0_13
; %bb.10:
	s_mov_b32 s2, exec_lo
                                        ; implicit-def: $vgpr3
                                        ; implicit-def: $vgpr9
                                        ; implicit-def: $vgpr13
                                        ; implicit-def: $vgpr11
                                        ; implicit-def: $vgpr5
                                        ; implicit-def: $vgpr7
	v_cmpx_gt_u32_e32 0x51, v0
	s_cbranch_execz .LBB0_12
; %bb.11:
	v_add_nc_u32_e32 v14, 0x51, v0
	v_mad_co_u64_u32 v[3:4], null, s10, v0, 0
	v_add_nc_u32_e32 v16, 0xa2, v0
	v_lshlrev_b64_e32 v[7:8], 3, v[1:2]
	s_delay_alu instid0(VALU_DEP_4) | instskip(SKIP_1) | instid1(VALU_DEP_4)
	v_mad_co_u64_u32 v[5:6], null, s10, v14, 0
	v_add_nc_u32_e32 v17, 0xf3, v0
	v_mad_co_u64_u32 v[9:10], null, s10, v16, 0
	s_delay_alu instid0(VALU_DEP_4)
	v_add_co_u32 v20, s0, s8, v7
	s_wait_alu 0xf1ff
	v_add_co_ci_u32_e64 v21, s0, s9, v8, s0
	v_mad_co_u64_u32 v[11:12], null, s11, v0, v[4:5]
	v_mov_b32_e32 v4, v6
	v_mad_co_u64_u32 v[12:13], null, s10, v17, 0
	v_add_nc_u32_e32 v19, 0x144, v0
	s_delay_alu instid0(VALU_DEP_4) | instskip(NEXT) | instid1(VALU_DEP_3)
	v_mad_co_u64_u32 v[7:8], null, s11, v16, v[10:11]
	v_mov_b32_e32 v8, v13
	s_delay_alu instid0(VALU_DEP_1) | instskip(NEXT) | instid1(VALU_DEP_1)
	v_mad_co_u64_u32 v[16:17], null, s11, v17, v[8:9]
	v_dual_mov_b32 v10, v7 :: v_dual_mov_b32 v13, v16
	v_mad_co_u64_u32 v[14:15], null, s11, v14, v[4:5]
	v_dual_mov_b32 v4, v11 :: v_dual_add_nc_u32 v11, 0x195, v0
	s_delay_alu instid0(VALU_DEP_1) | instskip(NEXT) | instid1(VALU_DEP_3)
	v_lshlrev_b64_e32 v[3:4], 3, v[3:4]
	v_mov_b32_e32 v6, v14
	v_mad_co_u64_u32 v[14:15], null, s10, v19, 0
	s_delay_alu instid0(VALU_DEP_4) | instskip(NEXT) | instid1(VALU_DEP_3)
	v_mad_co_u64_u32 v[17:18], null, s10, v11, 0
	v_lshlrev_b64_e32 v[5:6], 3, v[5:6]
	v_add_co_u32 v3, s0, v20, v3
	s_wait_alu 0xf1ff
	v_add_co_ci_u32_e64 v4, s0, v21, v4, s0
	v_mov_b32_e32 v8, v15
	s_delay_alu instid0(VALU_DEP_4) | instskip(SKIP_2) | instid1(VALU_DEP_3)
	v_add_co_u32 v5, s0, v20, v5
	s_wait_alu 0xf1ff
	v_add_co_ci_u32_e64 v6, s0, v21, v6, s0
	v_mad_co_u64_u32 v[7:8], null, s11, v19, v[8:9]
	v_lshlrev_b64_e32 v[9:10], 3, v[9:10]
	v_mov_b32_e32 v8, v18
	s_delay_alu instid0(VALU_DEP_1) | instskip(NEXT) | instid1(VALU_DEP_4)
	v_mad_co_u64_u32 v[18:19], null, s11, v11, v[8:9]
	v_mov_b32_e32 v15, v7
	v_lshlrev_b64_e32 v[11:12], 3, v[12:13]
	v_add_co_u32 v7, s0, v20, v9
	s_wait_alu 0xf1ff
	v_add_co_ci_u32_e64 v8, s0, v21, v10, s0
	v_lshlrev_b64_e32 v[9:10], 3, v[14:15]
	s_delay_alu instid0(VALU_DEP_4) | instskip(SKIP_3) | instid1(VALU_DEP_4)
	v_add_co_u32 v11, s0, v20, v11
	v_lshlrev_b64_e32 v[13:14], 3, v[17:18]
	s_wait_alu 0xf1ff
	v_add_co_ci_u32_e64 v12, s0, v21, v12, s0
	v_add_co_u32 v15, s0, v20, v9
	s_wait_alu 0xf1ff
	v_add_co_ci_u32_e64 v16, s0, v21, v10, s0
	v_add_co_u32 v17, s0, v20, v13
	s_wait_alu 0xf1ff
	v_add_co_ci_u32_e64 v18, s0, v21, v14, s0
	s_clause 0x5
	global_load_b64 v[3:4], v[3:4], off
	global_load_b64 v[9:10], v[5:6], off
	;; [unrolled: 1-line block ×6, first 2 shown]
.LBB0_12:
	s_wait_alu 0xfffe
	s_or_b32 exec_lo, exec_lo, s2
	v_mov_b32_e32 v17, v0
.LBB0_13:
	s_wait_alu 0xfffe
	s_or_b32 exec_lo, exec_lo, s1
	s_wait_loadcnt 0x0
	v_dual_add_f32 v15, v7, v11 :: v_dual_add_f32 v16, v8, v12
	v_cmp_gt_u32_e64 s0, 0x51, v0
	s_delay_alu instid0(VALU_DEP_2) | instskip(SKIP_1) | instid1(VALU_DEP_4)
	v_fma_f32 v18, -0.5, v15, v9
	v_sub_f32_e32 v15, v11, v7
	v_fma_f32 v20, -0.5, v16, v10
	v_sub_f32_e32 v19, v12, v8
	s_delay_alu instid0(VALU_DEP_1) | instskip(SKIP_1) | instid1(VALU_DEP_4)
	v_fmamk_f32 v21, v19, 0x3f5db3d7, v18
	v_fmac_f32_e32 v18, 0xbf5db3d7, v19
	v_fmamk_f32 v19, v15, 0xbf5db3d7, v20
	v_fmac_f32_e32 v20, 0x3f5db3d7, v15
	s_and_saveexec_b32 s1, s0
	s_cbranch_execz .LBB0_15
; %bb.14:
	v_dual_add_f32 v15, v5, v13 :: v_dual_sub_f32 v16, v14, v6
	v_dual_mul_f32 v22, -0.5, v18 :: v_dual_add_f32 v23, v13, v3
	v_add_f32_e32 v9, v11, v9
	s_delay_alu instid0(VALU_DEP_3) | instskip(NEXT) | instid1(VALU_DEP_3)
	v_fma_f32 v3, -0.5, v15, v3
	v_dual_mul_f32 v11, 0.5, v21 :: v_dual_fmac_f32 v22, 0x3f5db3d7, v20
	s_delay_alu instid0(VALU_DEP_3) | instskip(NEXT) | instid1(VALU_DEP_3)
	v_dual_add_f32 v24, v5, v23 :: v_dual_add_f32 v7, v7, v9
	v_fmamk_f32 v9, v16, 0xbf5db3d7, v3
	s_delay_alu instid0(VALU_DEP_3) | instskip(SKIP_4) | instid1(VALU_DEP_4)
	v_fmac_f32_e32 v11, 0x3f5db3d7, v19
	v_fmac_f32_e32 v3, 0x3f5db3d7, v16
	v_mul_u32_u24_e32 v26, 6, v0
	v_sub_f32_e32 v16, v24, v7
	v_dual_add_f32 v24, v7, v24 :: v_dual_add_f32 v15, v9, v22
	v_add_f32_e32 v25, v3, v11
	s_delay_alu instid0(VALU_DEP_4)
	v_lshl_add_u32 v7, v26, 2, 0
	v_dual_sub_f32 v23, v9, v22 :: v_dual_sub_f32 v22, v3, v11
	ds_store_2addr_b64 v7, v[24:25], v[15:16] offset1:1
	ds_store_b64 v7, v[22:23] offset:16
.LBB0_15:
	s_wait_alu 0xfffe
	s_or_b32 exec_lo, exec_lo, s1
	v_lshl_add_u32 v7, v0, 2, 0
	global_wb scope:SCOPE_SE
	s_wait_dscnt 0x0
	s_barrier_signal -1
	s_barrier_wait -1
	global_inv scope:SCOPE_SE
	ds_load_2addr_b32 v[15:16], v7 offset1:162
	ds_load_b32 v3, v7 offset:1296
	global_wb scope:SCOPE_SE
	s_wait_dscnt 0x0
	s_barrier_signal -1
	s_barrier_wait -1
	global_inv scope:SCOPE_SE
	s_and_saveexec_b32 s1, s0
	s_cbranch_execz .LBB0_17
; %bb.16:
	v_add_f32_e32 v9, v6, v14
	v_dual_add_f32 v11, v14, v4 :: v_dual_add_f32 v10, v12, v10
	v_sub_f32_e32 v5, v13, v5
	v_mul_f32_e32 v12, 0xbf5db3d7, v21
	s_delay_alu instid0(VALU_DEP_4) | instskip(NEXT) | instid1(VALU_DEP_4)
	v_dual_fmac_f32 v4, -0.5, v9 :: v_dual_mul_f32 v13, -0.5, v20
	v_dual_add_f32 v6, v6, v11 :: v_dual_add_f32 v9, v8, v10
	s_delay_alu instid0(VALU_DEP_3) | instskip(NEXT) | instid1(VALU_DEP_3)
	v_fmac_f32_e32 v12, 0.5, v19
	v_dual_fmamk_f32 v10, v5, 0xbf5db3d7, v4 :: v_dual_fmac_f32 v13, 0xbf5db3d7, v18
	v_fmamk_f32 v11, v5, 0x3f5db3d7, v4
	s_delay_alu instid0(VALU_DEP_4) | instskip(NEXT) | instid1(VALU_DEP_3)
	v_dual_add_f32 v4, v9, v6 :: v_dual_sub_f32 v9, v6, v9
	v_add_f32_e32 v5, v10, v12
	v_sub_f32_e32 v10, v10, v12
	s_delay_alu instid0(VALU_DEP_4)
	v_add_f32_e32 v8, v11, v13
	v_mad_u32_u24 v6, v0, 20, v7
	v_sub_f32_e32 v11, v11, v13
	ds_store_2addr_b64 v6, v[4:5], v[8:9] offset1:1
	ds_store_b64 v6, v[10:11] offset:16
.LBB0_17:
	s_wait_alu 0xfffe
	s_or_b32 exec_lo, exec_lo, s1
	v_and_b32_e32 v12, 0xff, v0
	global_wb scope:SCOPE_SE
	s_wait_dscnt 0x0
	s_barrier_signal -1
	s_barrier_wait -1
	global_inv scope:SCOPE_SE
	v_mul_lo_u16 v4, 0xab, v12
	s_delay_alu instid0(VALU_DEP_1) | instskip(NEXT) | instid1(VALU_DEP_1)
	v_lshrrev_b16 v6, 10, v4
	v_mul_lo_u16 v4, v6, 6
	s_delay_alu instid0(VALU_DEP_1) | instskip(NEXT) | instid1(VALU_DEP_1)
	v_sub_nc_u16 v4, v0, v4
	v_and_b32_e32 v13, 0xff, v4
	s_delay_alu instid0(VALU_DEP_1) | instskip(SKIP_3) | instid1(VALU_DEP_2)
	v_lshlrev_b32_e32 v4, 4, v13
	global_load_b128 v[8:11], v4, s[4:5]
	v_mul_lo_u16 v4, v12, 57
	v_and_b32_e32 v6, 0xffff, v6
	v_lshrrev_b16 v14, 10, v4
	ds_load_2addr_b32 v[4:5], v7 offset1:162
	ds_load_b32 v18, v7 offset:1296
	global_wb scope:SCOPE_SE
	s_wait_loadcnt_dscnt 0x0
	s_barrier_signal -1
	s_barrier_wait -1
	v_mul_lo_u16 v19, v14, 18
	global_inv scope:SCOPE_SE
	v_and_b32_e32 v14, 0xffff, v14
	v_sub_nc_u16 v19, v0, v19
	s_delay_alu instid0(VALU_DEP_2) | instskip(SKIP_4) | instid1(VALU_DEP_4)
	v_mul_u32_u24_e32 v14, 0xd8, v14
	v_mul_f32_e32 v21, v5, v9
	v_dual_mul_f32 v9, v16, v9 :: v_dual_mul_f32 v22, v18, v11
	v_mul_f32_e32 v11, v3, v11
	v_mul_u32_u24_e32 v6, 0x48, v6
	v_fma_f32 v16, v16, v8, -v21
	v_and_b32_e32 v19, 0xff, v19
	v_fma_f32 v3, v3, v10, -v22
	v_fmac_f32_e32 v9, v5, v8
	s_delay_alu instid0(VALU_DEP_4) | instskip(NEXT) | instid1(VALU_DEP_4)
	v_dual_fmac_f32 v11, v18, v10 :: v_dual_add_f32 v8, v15, v16
	v_lshlrev_b32_e32 v20, 4, v19
	v_lshlrev_b32_e32 v13, 2, v13
	v_add_f32_e32 v5, v16, v3
	s_delay_alu instid0(VALU_DEP_4) | instskip(SKIP_1) | instid1(VALU_DEP_4)
	v_add_f32_e32 v10, v9, v11
	v_lshlrev_b32_e32 v18, 2, v19
	v_add3_u32 v6, 0, v6, v13
	s_delay_alu instid0(VALU_DEP_4) | instskip(NEXT) | instid1(VALU_DEP_4)
	v_fmac_f32_e32 v15, -0.5, v5
	v_dual_add_f32 v5, v4, v9 :: v_dual_fmac_f32 v4, -0.5, v10
	v_sub_f32_e32 v13, v9, v11
	v_sub_f32_e32 v9, v16, v3
	v_add_f32_e32 v3, v8, v3
	s_delay_alu instid0(VALU_DEP_4) | instskip(SKIP_1) | instid1(VALU_DEP_4)
	v_add_f32_e32 v5, v5, v11
	v_add3_u32 v14, 0, v14, v18
	v_fmamk_f32 v10, v9, 0xbf5db3d7, v4
	v_fmac_f32_e32 v4, 0x3f5db3d7, v9
	v_fmamk_f32 v8, v13, 0x3f5db3d7, v15
	v_fmac_f32_e32 v15, 0xbf5db3d7, v13
	ds_store_2addr_b32 v6, v3, v8 offset1:6
	ds_store_b32 v6, v15 offset:48
	global_wb scope:SCOPE_SE
	s_wait_dscnt 0x0
	s_barrier_signal -1
	s_barrier_wait -1
	global_inv scope:SCOPE_SE
	ds_load_2addr_b32 v[8:9], v7 offset1:162
	ds_load_b32 v13, v7 offset:1296
	global_wb scope:SCOPE_SE
	s_wait_dscnt 0x0
	s_barrier_signal -1
	s_barrier_wait -1
	global_inv scope:SCOPE_SE
	ds_store_2addr_b32 v6, v5, v10 offset1:6
	ds_store_b32 v6, v4 offset:48
	global_wb scope:SCOPE_SE
	s_wait_dscnt 0x0
	s_barrier_signal -1
	s_barrier_wait -1
	global_inv scope:SCOPE_SE
	global_load_b128 v[3:6], v20, s[4:5] offset:96
	v_mul_lo_u16 v10, v12, 19
	s_delay_alu instid0(VALU_DEP_1)
	v_lshrrev_b16 v12, 10, v10
	ds_load_2addr_b32 v[10:11], v7 offset1:162
	ds_load_b32 v15, v7 offset:1296
	global_wb scope:SCOPE_SE
	s_wait_loadcnt_dscnt 0x0
	s_barrier_signal -1
	s_barrier_wait -1
	v_mul_lo_u16 v16, v12, 54
	global_inv scope:SCOPE_SE
	v_sub_nc_u16 v16, v0, v16
	s_delay_alu instid0(VALU_DEP_1) | instskip(NEXT) | instid1(VALU_DEP_1)
	v_and_b32_e32 v16, 0xff, v16
	v_lshlrev_b32_e32 v19, 4, v16
	v_mul_f32_e32 v18, v11, v4
	v_mul_f32_e32 v20, v15, v6
	;; [unrolled: 1-line block ×4, first 2 shown]
	s_delay_alu instid0(VALU_DEP_4) | instskip(NEXT) | instid1(VALU_DEP_4)
	v_fma_f32 v9, v9, v3, -v18
	v_fma_f32 v13, v13, v5, -v20
	s_delay_alu instid0(VALU_DEP_4) | instskip(NEXT) | instid1(VALU_DEP_3)
	v_fmac_f32_e32 v6, v15, v5
	v_dual_add_f32 v5, v8, v9 :: v_dual_fmac_f32 v4, v11, v3
	s_delay_alu instid0(VALU_DEP_3) | instskip(NEXT) | instid1(VALU_DEP_1)
	v_add_f32_e32 v3, v9, v13
	v_dual_add_f32 v5, v5, v13 :: v_dual_fmac_f32 v8, -0.5, v3
	s_delay_alu instid0(VALU_DEP_3) | instskip(SKIP_2) | instid1(VALU_DEP_2)
	v_add_f32_e32 v3, v10, v4
	v_add_f32_e32 v11, v4, v6
	v_dual_sub_f32 v15, v4, v6 :: v_dual_sub_f32 v4, v9, v13
	v_dual_add_f32 v3, v3, v6 :: v_dual_fmac_f32 v10, -0.5, v11
	s_delay_alu instid0(VALU_DEP_2)
	v_fmamk_f32 v9, v15, 0x3f5db3d7, v8
	v_fmac_f32_e32 v8, 0xbf5db3d7, v15
	ds_store_2addr_b32 v14, v5, v9 offset1:18
	ds_store_b32 v14, v8 offset:144
	v_fmamk_f32 v6, v4, 0xbf5db3d7, v10
	v_fmac_f32_e32 v10, 0x3f5db3d7, v4
	global_wb scope:SCOPE_SE
	s_wait_dscnt 0x0
	s_barrier_signal -1
	s_barrier_wait -1
	global_inv scope:SCOPE_SE
	ds_load_2addr_b32 v[8:9], v7 offset1:162
	ds_load_b32 v13, v7 offset:1296
	global_wb scope:SCOPE_SE
	s_wait_dscnt 0x0
	s_barrier_signal -1
	s_barrier_wait -1
	global_inv scope:SCOPE_SE
	ds_store_2addr_b32 v14, v3, v6 offset1:18
	ds_store_b32 v14, v10 offset:144
	global_wb scope:SCOPE_SE
	s_wait_dscnt 0x0
	s_barrier_signal -1
	s_barrier_wait -1
	global_inv scope:SCOPE_SE
	global_load_b128 v[3:6], v19, s[4:5] offset:384
	ds_load_2addr_b32 v[10:11], v7 offset1:162
	ds_load_b32 v14, v7 offset:1296
	global_wb scope:SCOPE_SE
	s_wait_loadcnt_dscnt 0x0
	s_barrier_signal -1
	s_barrier_wait -1
	global_inv scope:SCOPE_SE
	v_dual_mul_f32 v15, v11, v4 :: v_dual_mul_f32 v18, v14, v6
	v_mul_f32_e32 v6, v13, v6
	v_mul_f32_e32 v19, v9, v4
	s_delay_alu instid0(VALU_DEP_3) | instskip(NEXT) | instid1(VALU_DEP_4)
	v_fma_f32 v9, v9, v3, -v15
	v_fma_f32 v13, v13, v5, -v18
	s_delay_alu instid0(VALU_DEP_4) | instskip(NEXT) | instid1(VALU_DEP_4)
	v_fmac_f32_e32 v6, v14, v5
	v_dual_fmac_f32 v19, v11, v3 :: v_dual_and_b32 v12, 0xffff, v12
	v_lshlrev_b32_e32 v5, 2, v16
	s_delay_alu instid0(VALU_DEP_4) | instskip(SKIP_1) | instid1(VALU_DEP_4)
	v_add_f32_e32 v3, v9, v13
	v_add_f32_e32 v11, v8, v9
	v_mul_u32_u24_e32 v4, 0x288, v12
	v_dual_sub_f32 v12, v19, v6 :: v_dual_sub_f32 v9, v9, v13
	s_delay_alu instid0(VALU_DEP_3) | instskip(NEXT) | instid1(VALU_DEP_3)
	v_dual_fmac_f32 v8, -0.5, v3 :: v_dual_add_f32 v3, v11, v13
	v_add3_u32 v14, 0, v4, v5
	s_delay_alu instid0(VALU_DEP_2)
	v_dual_add_f32 v11, v19, v6 :: v_dual_fmamk_f32 v4, v12, 0x3f5db3d7, v8
	v_fmac_f32_e32 v8, 0xbf5db3d7, v12
	ds_store_2addr_b32 v14, v3, v4 offset1:54
	ds_store_b32 v14, v8 offset:432
	global_wb scope:SCOPE_SE
	s_wait_dscnt 0x0
	s_barrier_signal -1
	s_barrier_wait -1
	global_inv scope:SCOPE_SE
	ds_load_2addr_b32 v[3:4], v7 offset1:162
	ds_load_b32 v5, v7 offset:1296
	v_add_f32_e32 v8, v10, v19
	v_fmac_f32_e32 v10, -0.5, v11
	global_wb scope:SCOPE_SE
	s_wait_dscnt 0x0
	s_barrier_signal -1
	s_barrier_wait -1
	v_add_f32_e32 v6, v8, v6
	v_fmamk_f32 v8, v9, 0xbf5db3d7, v10
	v_fmac_f32_e32 v10, 0x3f5db3d7, v9
	global_inv scope:SCOPE_SE
	ds_store_2addr_b32 v14, v6, v8 offset1:54
	ds_store_b32 v14, v10 offset:432
	global_wb scope:SCOPE_SE
	s_wait_dscnt 0x0
	s_barrier_signal -1
	s_barrier_wait -1
	global_inv scope:SCOPE_SE
	s_and_saveexec_b32 s0, vcc_lo
	s_cbranch_execz .LBB0_19
; %bb.18:
	v_dual_mov_b32 v9, 0 :: v_dual_lshlrev_b32 v8, 1, v0
	v_mad_co_u64_u32 v[12:13], null, s10, v17, 0
	v_add_nc_u32_e32 v23, 0x144, v17
	ds_load_2addr_b32 v[20:21], v7 offset1:162
	v_lshlrev_b64_e32 v[8:9], 3, v[8:9]
	ds_load_b32 v24, v7 offset:1296
	v_mov_b32_e32 v0, v13
	v_mad_co_u64_u32 v[18:19], null, s10, v23, 0
	v_add_co_u32 v8, vcc_lo, s4, v8
	s_wait_alu 0xfffd
	v_add_co_ci_u32_e32 v9, vcc_lo, s5, v9, vcc_lo
	s_delay_alu instid0(VALU_DEP_3) | instskip(SKIP_2) | instid1(VALU_DEP_1)
	v_dual_mov_b32 v7, v19 :: v_dual_add_nc_u32 v22, 0xa2, v17
	global_load_b128 v[8:11], v[8:9], off offset:1248
	v_mad_co_u64_u32 v[14:15], null, s10, v22, 0
	v_mov_b32_e32 v6, v15
	v_mad_co_u64_u32 v[15:16], null, s11, v17, v[0:1]
	v_lshlrev_b64_e32 v[0:1], 3, v[1:2]
	s_delay_alu instid0(VALU_DEP_2) | instskip(NEXT) | instid1(VALU_DEP_4)
	v_mov_b32_e32 v13, v15
	v_mad_co_u64_u32 v[16:17], null, s11, v22, v[6:7]
	s_delay_alu instid0(VALU_DEP_1) | instskip(NEXT) | instid1(VALU_DEP_4)
	v_mov_b32_e32 v15, v16
	v_add_co_u32 v16, vcc_lo, s8, v0
	s_wait_alu 0xfffd
	v_add_co_ci_u32_e32 v17, vcc_lo, s9, v1, vcc_lo
	v_lshlrev_b64_e32 v[0:1], 3, v[12:13]
	s_delay_alu instid0(VALU_DEP_1) | instskip(SKIP_1) | instid1(VALU_DEP_2)
	v_add_co_u32 v0, vcc_lo, v16, v0
	s_wait_alu 0xfffd
	v_add_co_ci_u32_e32 v1, vcc_lo, v17, v1, vcc_lo
	s_wait_loadcnt_dscnt 0x1
	v_mul_f32_e32 v2, v21, v9
	v_mad_co_u64_u32 v[6:7], null, s11, v23, v[7:8]
	s_delay_alu instid0(VALU_DEP_2) | instskip(NEXT) | instid1(VALU_DEP_2)
	v_fma_f32 v2, v4, v8, -v2
	v_mov_b32_e32 v19, v6
	v_lshlrev_b64_e32 v[6:7], 3, v[14:15]
	s_wait_dscnt 0x0
	v_mul_f32_e32 v14, v24, v11
	s_delay_alu instid0(VALU_DEP_3) | instskip(NEXT) | instid1(VALU_DEP_2)
	v_lshlrev_b64_e32 v[12:13], 3, v[18:19]
	v_fma_f32 v14, v5, v10, -v14
	v_mul_f32_e32 v9, v4, v9
	v_mul_f32_e32 v11, v5, v11
	v_add_co_u32 v4, vcc_lo, v16, v6
	s_wait_alu 0xfffd
	v_add_co_ci_u32_e32 v5, vcc_lo, v17, v7, vcc_lo
	v_fmac_f32_e32 v9, v8, v21
	v_fmac_f32_e32 v11, v10, v24
	v_sub_f32_e32 v8, v2, v14
	v_add_f32_e32 v10, v2, v14
	s_delay_alu instid0(VALU_DEP_4) | instskip(NEXT) | instid1(VALU_DEP_4)
	v_dual_add_f32 v2, v3, v2 :: v_dual_add_f32 v15, v9, v20
	v_add_f32_e32 v6, v9, v11
	s_delay_alu instid0(VALU_DEP_2) | instskip(NEXT) | instid1(VALU_DEP_2)
	v_add_f32_e32 v2, v2, v14
	v_fma_f32 v7, -0.5, v6, v20
	v_sub_f32_e32 v18, v9, v11
	v_fma_f32 v6, -0.5, v10, v3
	v_add_co_u32 v10, vcc_lo, v16, v12
	s_delay_alu instid0(VALU_DEP_4) | instskip(NEXT) | instid1(VALU_DEP_3)
	v_fmamk_f32 v9, v8, 0x3f5db3d7, v7
	v_dual_fmac_f32 v7, 0xbf5db3d7, v8 :: v_dual_fmamk_f32 v8, v18, 0xbf5db3d7, v6
	v_dual_fmac_f32 v6, 0x3f5db3d7, v18 :: v_dual_add_f32 v3, v11, v15
	s_wait_alu 0xfffd
	v_add_co_ci_u32_e32 v11, vcc_lo, v17, v13, vcc_lo
	s_clause 0x2
	global_store_b64 v[0:1], v[2:3], off
	global_store_b64 v[4:5], v[6:7], off
	;; [unrolled: 1-line block ×3, first 2 shown]
.LBB0_19:
	s_nop 0
	s_sendmsg sendmsg(MSG_DEALLOC_VGPRS)
	s_endpgm
	.section	.rodata,"a",@progbits
	.p2align	6, 0x0
	.amdhsa_kernel fft_rtc_fwd_len486_factors_6_3_3_3_3_wgs_162_tpt_162_halfLds_sp_ip_CI_sbrr_dirReg
		.amdhsa_group_segment_fixed_size 0
		.amdhsa_private_segment_fixed_size 0
		.amdhsa_kernarg_size 88
		.amdhsa_user_sgpr_count 2
		.amdhsa_user_sgpr_dispatch_ptr 0
		.amdhsa_user_sgpr_queue_ptr 0
		.amdhsa_user_sgpr_kernarg_segment_ptr 1
		.amdhsa_user_sgpr_dispatch_id 0
		.amdhsa_user_sgpr_private_segment_size 0
		.amdhsa_wavefront_size32 1
		.amdhsa_uses_dynamic_stack 0
		.amdhsa_enable_private_segment 0
		.amdhsa_system_sgpr_workgroup_id_x 1
		.amdhsa_system_sgpr_workgroup_id_y 0
		.amdhsa_system_sgpr_workgroup_id_z 0
		.amdhsa_system_sgpr_workgroup_info 0
		.amdhsa_system_vgpr_workitem_id 0
		.amdhsa_next_free_vgpr 27
		.amdhsa_next_free_sgpr 35
		.amdhsa_reserve_vcc 1
		.amdhsa_float_round_mode_32 0
		.amdhsa_float_round_mode_16_64 0
		.amdhsa_float_denorm_mode_32 3
		.amdhsa_float_denorm_mode_16_64 3
		.amdhsa_fp16_overflow 0
		.amdhsa_workgroup_processor_mode 1
		.amdhsa_memory_ordered 1
		.amdhsa_forward_progress 0
		.amdhsa_round_robin_scheduling 0
		.amdhsa_exception_fp_ieee_invalid_op 0
		.amdhsa_exception_fp_denorm_src 0
		.amdhsa_exception_fp_ieee_div_zero 0
		.amdhsa_exception_fp_ieee_overflow 0
		.amdhsa_exception_fp_ieee_underflow 0
		.amdhsa_exception_fp_ieee_inexact 0
		.amdhsa_exception_int_div_zero 0
	.end_amdhsa_kernel
	.text
.Lfunc_end0:
	.size	fft_rtc_fwd_len486_factors_6_3_3_3_3_wgs_162_tpt_162_halfLds_sp_ip_CI_sbrr_dirReg, .Lfunc_end0-fft_rtc_fwd_len486_factors_6_3_3_3_3_wgs_162_tpt_162_halfLds_sp_ip_CI_sbrr_dirReg
                                        ; -- End function
	.section	.AMDGPU.csdata,"",@progbits
; Kernel info:
; codeLenInByte = 4044
; NumSgprs: 37
; NumVgprs: 27
; ScratchSize: 0
; MemoryBound: 0
; FloatMode: 240
; IeeeMode: 1
; LDSByteSize: 0 bytes/workgroup (compile time only)
; SGPRBlocks: 4
; VGPRBlocks: 3
; NumSGPRsForWavesPerEU: 37
; NumVGPRsForWavesPerEU: 27
; Occupancy: 15
; WaveLimiterHint : 1
; COMPUTE_PGM_RSRC2:SCRATCH_EN: 0
; COMPUTE_PGM_RSRC2:USER_SGPR: 2
; COMPUTE_PGM_RSRC2:TRAP_HANDLER: 0
; COMPUTE_PGM_RSRC2:TGID_X_EN: 1
; COMPUTE_PGM_RSRC2:TGID_Y_EN: 0
; COMPUTE_PGM_RSRC2:TGID_Z_EN: 0
; COMPUTE_PGM_RSRC2:TIDIG_COMP_CNT: 0
	.text
	.p2alignl 7, 3214868480
	.fill 96, 4, 3214868480
	.type	__hip_cuid_c8fe26815ea9eb4b,@object ; @__hip_cuid_c8fe26815ea9eb4b
	.section	.bss,"aw",@nobits
	.globl	__hip_cuid_c8fe26815ea9eb4b
__hip_cuid_c8fe26815ea9eb4b:
	.byte	0                               ; 0x0
	.size	__hip_cuid_c8fe26815ea9eb4b, 1

	.ident	"AMD clang version 19.0.0git (https://github.com/RadeonOpenCompute/llvm-project roc-6.4.0 25133 c7fe45cf4b819c5991fe208aaa96edf142730f1d)"
	.section	".note.GNU-stack","",@progbits
	.addrsig
	.addrsig_sym __hip_cuid_c8fe26815ea9eb4b
	.amdgpu_metadata
---
amdhsa.kernels:
  - .args:
      - .actual_access:  read_only
        .address_space:  global
        .offset:         0
        .size:           8
        .value_kind:     global_buffer
      - .offset:         8
        .size:           8
        .value_kind:     by_value
      - .actual_access:  read_only
        .address_space:  global
        .offset:         16
        .size:           8
        .value_kind:     global_buffer
      - .actual_access:  read_only
        .address_space:  global
        .offset:         24
        .size:           8
        .value_kind:     global_buffer
      - .offset:         32
        .size:           8
        .value_kind:     by_value
      - .actual_access:  read_only
        .address_space:  global
        .offset:         40
        .size:           8
        .value_kind:     global_buffer
      - .actual_access:  read_only
        .address_space:  global
        .offset:         48
        .size:           8
        .value_kind:     global_buffer
      - .offset:         56
        .size:           4
        .value_kind:     by_value
      - .actual_access:  read_only
        .address_space:  global
        .offset:         64
        .size:           8
        .value_kind:     global_buffer
      - .actual_access:  read_only
        .address_space:  global
        .offset:         72
        .size:           8
        .value_kind:     global_buffer
      - .address_space:  global
        .offset:         80
        .size:           8
        .value_kind:     global_buffer
    .group_segment_fixed_size: 0
    .kernarg_segment_align: 8
    .kernarg_segment_size: 88
    .language:       OpenCL C
    .language_version:
      - 2
      - 0
    .max_flat_workgroup_size: 162
    .name:           fft_rtc_fwd_len486_factors_6_3_3_3_3_wgs_162_tpt_162_halfLds_sp_ip_CI_sbrr_dirReg
    .private_segment_fixed_size: 0
    .sgpr_count:     37
    .sgpr_spill_count: 0
    .symbol:         fft_rtc_fwd_len486_factors_6_3_3_3_3_wgs_162_tpt_162_halfLds_sp_ip_CI_sbrr_dirReg.kd
    .uniform_work_group_size: 1
    .uses_dynamic_stack: false
    .vgpr_count:     27
    .vgpr_spill_count: 0
    .wavefront_size: 32
    .workgroup_processor_mode: 1
amdhsa.target:   amdgcn-amd-amdhsa--gfx1201
amdhsa.version:
  - 1
  - 2
...

	.end_amdgpu_metadata
